;; amdgpu-corpus repo=ROCm/rocFFT kind=compiled arch=gfx1201 opt=O3
	.text
	.amdgcn_target "amdgcn-amd-amdhsa--gfx1201"
	.amdhsa_code_object_version 6
	.protected	fft_rtc_fwd_len336_factors_6_7_8_wgs_336_tpt_56_half_ip_CI_sbcc_twdbase5_3step_dirReg_intrinsicRead ; -- Begin function fft_rtc_fwd_len336_factors_6_7_8_wgs_336_tpt_56_half_ip_CI_sbcc_twdbase5_3step_dirReg_intrinsicRead
	.globl	fft_rtc_fwd_len336_factors_6_7_8_wgs_336_tpt_56_half_ip_CI_sbcc_twdbase5_3step_dirReg_intrinsicRead
	.p2align	8
	.type	fft_rtc_fwd_len336_factors_6_7_8_wgs_336_tpt_56_half_ip_CI_sbcc_twdbase5_3step_dirReg_intrinsicRead,@function
fft_rtc_fwd_len336_factors_6_7_8_wgs_336_tpt_56_half_ip_CI_sbcc_twdbase5_3step_dirReg_intrinsicRead: ; @fft_rtc_fwd_len336_factors_6_7_8_wgs_336_tpt_56_half_ip_CI_sbcc_twdbase5_3step_dirReg_intrinsicRead
; %bb.0:
	s_load_b256 s[4:11], s[0:1], 0x8
	s_mov_b32 s18, ttmp9
	s_mov_b32 s2, exec_lo
	v_cmpx_gt_u32_e32 0x60, v0
	s_cbranch_execz .LBB0_2
; %bb.1:
	v_lshlrev_b32_e32 v1, 2, v0
	s_wait_kmcnt 0x0
	global_load_b32 v2, v1, s[4:5]
	v_add_nc_u32_e32 v1, 0, v1
	s_wait_loadcnt 0x0
	ds_store_b32 v1, v2 offset:8064
.LBB0_2:
	s_or_b32 exec_lo, exec_lo, s2
	s_mov_b32 s19, 0
	s_mov_b32 s2, 0xaaa80000
	s_movk_i32 s3, 0xaa
	s_wait_kmcnt 0x0
	s_mov_b32 s4, s19
	s_mov_b32 s5, s19
	s_mov_b32 s17, s19
	s_add_nc_u64 s[2:3], s[4:5], s[2:3]
	s_load_b64 s[4:5], s[8:9], 0x8
	s_add_co_i32 s3, s3, 0x2aaaaa00
	s_mov_b64 s[24:25], 0
	s_mul_u64 s[12:13], s[2:3], -6
	s_delay_alu instid0(SALU_CYCLE_1)
	s_mul_hi_u32 s15, s2, s13
	s_mul_i32 s14, s2, s13
	s_mul_hi_u32 s16, s2, s12
	s_mul_hi_u32 s20, s3, s12
	s_mul_i32 s12, s3, s12
	s_add_nc_u64 s[14:15], s[16:17], s[14:15]
	s_mul_hi_u32 s16, s3, s13
	s_add_co_u32 s12, s14, s12
	s_add_co_ci_u32 s12, s15, s20
	s_add_co_ci_u32 s15, s16, 0
	s_mul_i32 s14, s3, s13
	s_mov_b32 s13, s19
	s_delay_alu instid0(SALU_CYCLE_1) | instskip(NEXT) | instid1(SALU_CYCLE_1)
	s_add_nc_u64 s[12:13], s[12:13], s[14:15]
	v_add_co_u32 v1, s2, s2, s12
	s_delay_alu instid0(VALU_DEP_1)
	s_cmp_lg_u32 s2, 0
	s_wait_kmcnt 0x0
	s_add_nc_u64 s[14:15], s[4:5], -1
	s_add_co_ci_u32 s17, s3, s13
	v_readfirstlane_b32 s16, v1
	s_mul_hi_u32 s3, s14, s17
	s_mul_i32 s2, s14, s17
	s_mov_b32 s13, s19
	s_delay_alu instid0(VALU_DEP_1)
	s_mul_hi_u32 s12, s14, s16
	s_wait_alu 0xfffe
	s_add_nc_u64 s[2:3], s[12:13], s[2:3]
	s_mul_i32 s13, s15, s16
	s_mul_hi_u32 s16, s15, s16
	s_mul_hi_u32 s12, s15, s17
	s_wait_alu 0xfffe
	s_add_co_u32 s2, s2, s13
	s_add_co_ci_u32 s2, s3, s16
	s_add_co_ci_u32 s13, s12, 0
	s_mul_i32 s12, s15, s17
	s_mov_b32 s3, s19
	s_wait_alu 0xfffe
	s_add_nc_u64 s[2:3], s[2:3], s[12:13]
	s_wait_alu 0xfffe
	s_mul_u64 s[12:13], s[2:3], 6
	s_wait_alu 0xfffe
	v_sub_co_u32 v1, s12, s14, s12
	s_delay_alu instid0(VALU_DEP_1) | instskip(SKIP_1) | instid1(VALU_DEP_1)
	s_cmp_lg_u32 s12, 0
	s_sub_co_ci_u32 s16, s15, s13
	v_sub_co_u32 v2, s14, v1, 6
	s_delay_alu instid0(VALU_DEP_1) | instskip(SKIP_2) | instid1(VALU_DEP_2)
	s_cmp_lg_u32 s14, 0
	v_readfirstlane_b32 s20, v1
	s_sub_co_ci_u32 s14, s16, 0
	v_readfirstlane_b32 s12, v2
	s_delay_alu instid0(VALU_DEP_1)
	s_cmp_gt_u32 s12, 5
	s_add_nc_u64 s[12:13], s[2:3], 1
	s_cselect_b32 s17, -1, 0
	s_wait_alu 0xfffe
	s_cmp_eq_u32 s14, 0
	s_add_nc_u64 s[14:15], s[2:3], 2
	s_cselect_b32 s17, s17, -1
	s_delay_alu instid0(SALU_CYCLE_1)
	s_cmp_lg_u32 s17, 0
	s_wait_alu 0xfffe
	s_cselect_b32 s12, s14, s12
	s_cselect_b32 s13, s15, s13
	s_cmp_gt_u32 s20, 5
	s_cselect_b32 s14, -1, 0
	s_cmp_eq_u32 s16, 0
	s_wait_alu 0xfffe
	s_cselect_b32 s14, s14, -1
	s_wait_alu 0xfffe
	s_cmp_lg_u32 s14, 0
	s_cselect_b32 s3, s13, s3
	s_cselect_b32 s2, s12, s2
	s_wait_alu 0xfffe
	s_add_nc_u64 s[20:21], s[2:3], 1
	s_delay_alu instid0(SALU_CYCLE_1) | instskip(NEXT) | instid1(VALU_DEP_1)
	v_cmp_lt_u64_e64 s2, s[18:19], s[20:21]
	s_and_b32 vcc_lo, exec_lo, s2
	s_cbranch_vccnz .LBB0_4
; %bb.3:
	v_cvt_f32_u32_e32 v1, s20
	s_sub_co_i32 s3, 0, s20
	s_mov_b32 s25, s19
	s_delay_alu instid0(VALU_DEP_1) | instskip(NEXT) | instid1(TRANS32_DEP_1)
	v_rcp_iflag_f32_e32 v1, v1
	v_mul_f32_e32 v1, 0x4f7ffffe, v1
	s_delay_alu instid0(VALU_DEP_1) | instskip(NEXT) | instid1(VALU_DEP_1)
	v_cvt_u32_f32_e32 v1, v1
	v_readfirstlane_b32 s2, v1
	s_wait_alu 0xfffe
	s_delay_alu instid0(VALU_DEP_1)
	s_mul_i32 s3, s3, s2
	s_wait_alu 0xfffe
	s_mul_hi_u32 s3, s2, s3
	s_wait_alu 0xfffe
	s_add_co_i32 s2, s2, s3
	s_wait_alu 0xfffe
	s_mul_hi_u32 s2, s18, s2
	s_wait_alu 0xfffe
	s_mul_i32 s3, s2, s20
	s_add_co_i32 s12, s2, 1
	s_wait_alu 0xfffe
	s_sub_co_i32 s3, s18, s3
	s_wait_alu 0xfffe
	s_sub_co_i32 s13, s3, s20
	s_cmp_ge_u32 s3, s20
	s_cselect_b32 s2, s12, s2
	s_wait_alu 0xfffe
	s_cselect_b32 s3, s13, s3
	s_add_co_i32 s12, s2, 1
	s_wait_alu 0xfffe
	s_cmp_ge_u32 s3, s20
	s_cselect_b32 s24, s12, s2
.LBB0_4:
	s_load_b128 s[12:15], s[10:11], 0x0
	s_clause 0x1
	s_load_b64 s[2:3], s[0:1], 0x58
	s_load_b64 s[16:17], s[0:1], 0x0
	v_cmp_lt_u64_e64 s26, s[6:7], 3
	s_mul_u64 s[0:1], s[24:25], s[20:21]
	s_delay_alu instid0(SALU_CYCLE_1) | instskip(NEXT) | instid1(SALU_CYCLE_1)
	s_sub_nc_u64 s[0:1], s[18:19], s[0:1]
	s_mul_u64 s[22:23], s[0:1], 6
	s_delay_alu instid0(VALU_DEP_1)
	s_and_b32 vcc_lo, exec_lo, s26
	s_wait_kmcnt 0x0
	s_mul_u64 s[0:1], s[14:15], s[22:23]
	s_cbranch_vccnz .LBB0_14
; %bb.5:
	s_add_nc_u64 s[26:27], s[10:11], 16
	s_add_nc_u64 s[8:9], s[8:9], 16
	s_mov_b64 s[28:29], 2
	s_mov_b32 s30, 0
.LBB0_6:                                ; =>This Inner Loop Header: Depth=1
	s_load_b64 s[34:35], s[8:9], 0x0
                                        ; implicit-def: $sgpr38_sgpr39
	s_wait_kmcnt 0x0
	s_or_b64 s[36:37], s[24:25], s[34:35]
	s_delay_alu instid0(SALU_CYCLE_1)
	s_mov_b32 s31, s37
	s_mov_b32 s37, -1
	s_wait_alu 0xfffe
	s_cmp_lg_u64 s[30:31], 0
	s_cbranch_scc0 .LBB0_8
; %bb.7:                                ;   in Loop: Header=BB0_6 Depth=1
	s_cvt_f32_u32 s31, s34
	s_cvt_f32_u32 s33, s35
	s_sub_nc_u64 s[40:41], 0, s[34:35]
	s_mov_b32 s37, 0
	s_mov_b32 s45, s30
	s_wait_alu 0xfffe
	s_fmamk_f32 s31, s33, 0x4f800000, s31
	s_wait_alu 0xfffe
	s_delay_alu instid0(SALU_CYCLE_2) | instskip(NEXT) | instid1(TRANS32_DEP_1)
	v_s_rcp_f32 s31, s31
	s_mul_f32 s31, s31, 0x5f7ffffc
	s_wait_alu 0xfffe
	s_delay_alu instid0(SALU_CYCLE_2) | instskip(NEXT) | instid1(SALU_CYCLE_3)
	s_mul_f32 s33, s31, 0x2f800000
	s_trunc_f32 s33, s33
	s_delay_alu instid0(SALU_CYCLE_3) | instskip(SKIP_2) | instid1(SALU_CYCLE_1)
	s_fmamk_f32 s31, s33, 0xcf800000, s31
	s_cvt_u32_f32 s39, s33
	s_wait_alu 0xfffe
	s_cvt_u32_f32 s38, s31
	s_wait_alu 0xfffe
	s_delay_alu instid0(SALU_CYCLE_2)
	s_mul_u64 s[42:43], s[40:41], s[38:39]
	s_wait_alu 0xfffe
	s_mul_hi_u32 s47, s38, s43
	s_mul_i32 s46, s38, s43
	s_mul_hi_u32 s36, s38, s42
	s_mul_i32 s33, s39, s42
	s_add_nc_u64 s[46:47], s[36:37], s[46:47]
	s_mul_hi_u32 s31, s39, s42
	s_mul_hi_u32 s48, s39, s43
	s_add_co_u32 s33, s46, s33
	s_wait_alu 0xfffe
	s_add_co_ci_u32 s44, s47, s31
	s_mul_i32 s42, s39, s43
	s_add_co_ci_u32 s43, s48, 0
	s_wait_alu 0xfffe
	s_add_nc_u64 s[42:43], s[44:45], s[42:43]
	s_wait_alu 0xfffe
	v_add_co_u32 v1, s31, s38, s42
	s_delay_alu instid0(VALU_DEP_1) | instskip(SKIP_1) | instid1(VALU_DEP_1)
	s_cmp_lg_u32 s31, 0
	s_add_co_ci_u32 s39, s39, s43
	v_readfirstlane_b32 s38, v1
	s_mov_b32 s43, s30
	s_wait_alu 0xfffe
	s_delay_alu instid0(VALU_DEP_1)
	s_mul_u64 s[40:41], s[40:41], s[38:39]
	s_wait_alu 0xfffe
	s_mul_hi_u32 s45, s38, s41
	s_mul_i32 s44, s38, s41
	s_mul_hi_u32 s36, s38, s40
	s_mul_i32 s33, s39, s40
	s_add_nc_u64 s[44:45], s[36:37], s[44:45]
	s_mul_hi_u32 s31, s39, s40
	s_mul_hi_u32 s38, s39, s41
	s_add_co_u32 s33, s44, s33
	s_wait_alu 0xfffe
	s_add_co_ci_u32 s42, s45, s31
	s_mul_i32 s40, s39, s41
	s_add_co_ci_u32 s41, s38, 0
	s_wait_alu 0xfffe
	s_add_nc_u64 s[40:41], s[42:43], s[40:41]
	s_wait_alu 0xfffe
	v_add_co_u32 v1, s31, v1, s40
	s_delay_alu instid0(VALU_DEP_1) | instskip(SKIP_1) | instid1(VALU_DEP_1)
	s_cmp_lg_u32 s31, 0
	s_add_co_ci_u32 s31, s39, s41
	v_readfirstlane_b32 s33, v1
	s_wait_alu 0xfffe
	s_mul_hi_u32 s39, s24, s31
	s_mul_i32 s38, s24, s31
	s_mul_hi_u32 s41, s25, s31
	s_mul_i32 s40, s25, s31
	;; [unrolled: 2-line block ×3, first 2 shown]
	s_wait_alu 0xfffe
	s_add_nc_u64 s[38:39], s[36:37], s[38:39]
	s_mul_hi_u32 s33, s25, s33
	s_wait_alu 0xfffe
	s_add_co_u32 s31, s38, s31
	s_add_co_ci_u32 s42, s39, s33
	s_add_co_ci_u32 s41, s41, 0
	s_wait_alu 0xfffe
	s_add_nc_u64 s[38:39], s[42:43], s[40:41]
	s_wait_alu 0xfffe
	s_mul_u64 s[40:41], s[34:35], s[38:39]
	s_add_nc_u64 s[42:43], s[38:39], 1
	s_wait_alu 0xfffe
	v_sub_co_u32 v1, s31, s24, s40
	s_sub_co_i32 s33, s25, s41
	s_cmp_lg_u32 s31, 0
	s_add_nc_u64 s[44:45], s[38:39], 2
	s_delay_alu instid0(VALU_DEP_1) | instskip(SKIP_2) | instid1(VALU_DEP_1)
	v_sub_co_u32 v2, s36, v1, s34
	s_sub_co_ci_u32 s33, s33, s35
	s_cmp_lg_u32 s36, 0
	v_readfirstlane_b32 s36, v2
	s_sub_co_ci_u32 s33, s33, 0
	s_delay_alu instid0(SALU_CYCLE_1) | instskip(SKIP_1) | instid1(VALU_DEP_1)
	s_cmp_ge_u32 s33, s35
	s_cselect_b32 s40, -1, 0
	s_cmp_ge_u32 s36, s34
	s_cselect_b32 s36, -1, 0
	s_cmp_eq_u32 s33, s35
	s_wait_alu 0xfffe
	s_cselect_b32 s33, s36, s40
	s_delay_alu instid0(SALU_CYCLE_1)
	s_cmp_lg_u32 s33, 0
	s_cselect_b32 s33, s44, s42
	s_cselect_b32 s36, s45, s43
	s_cmp_lg_u32 s31, 0
	v_readfirstlane_b32 s31, v1
	s_sub_co_ci_u32 s40, s25, s41
	s_wait_alu 0xfffe
	s_cmp_ge_u32 s40, s35
	s_cselect_b32 s41, -1, 0
	s_cmp_ge_u32 s31, s34
	s_cselect_b32 s31, -1, 0
	s_cmp_eq_u32 s40, s35
	s_wait_alu 0xfffe
	s_cselect_b32 s31, s31, s41
	s_wait_alu 0xfffe
	s_cmp_lg_u32 s31, 0
	s_cselect_b32 s39, s36, s39
	s_cselect_b32 s38, s33, s38
.LBB0_8:                                ;   in Loop: Header=BB0_6 Depth=1
	s_and_not1_b32 vcc_lo, exec_lo, s37
	s_cbranch_vccnz .LBB0_10
; %bb.9:                                ;   in Loop: Header=BB0_6 Depth=1
	v_cvt_f32_u32_e32 v1, s34
	s_sub_co_i32 s33, 0, s34
	s_mov_b32 s39, s30
	s_delay_alu instid0(VALU_DEP_1) | instskip(NEXT) | instid1(TRANS32_DEP_1)
	v_rcp_iflag_f32_e32 v1, v1
	v_mul_f32_e32 v1, 0x4f7ffffe, v1
	s_delay_alu instid0(VALU_DEP_1) | instskip(NEXT) | instid1(VALU_DEP_1)
	v_cvt_u32_f32_e32 v1, v1
	v_readfirstlane_b32 s31, v1
	s_delay_alu instid0(VALU_DEP_1) | instskip(NEXT) | instid1(SALU_CYCLE_1)
	s_mul_i32 s33, s33, s31
	s_mul_hi_u32 s33, s31, s33
	s_delay_alu instid0(SALU_CYCLE_1)
	s_add_co_i32 s31, s31, s33
	s_wait_alu 0xfffe
	s_mul_hi_u32 s31, s24, s31
	s_wait_alu 0xfffe
	s_mul_i32 s33, s31, s34
	s_add_co_i32 s36, s31, 1
	s_sub_co_i32 s33, s24, s33
	s_delay_alu instid0(SALU_CYCLE_1)
	s_sub_co_i32 s37, s33, s34
	s_cmp_ge_u32 s33, s34
	s_cselect_b32 s31, s36, s31
	s_cselect_b32 s33, s37, s33
	s_wait_alu 0xfffe
	s_add_co_i32 s36, s31, 1
	s_cmp_ge_u32 s33, s34
	s_cselect_b32 s38, s36, s31
.LBB0_10:                               ;   in Loop: Header=BB0_6 Depth=1
	s_load_b64 s[36:37], s[26:27], 0x0
	s_add_nc_u64 s[28:29], s[28:29], 1
	s_mul_u64 s[20:21], s[34:35], s[20:21]
	s_wait_alu 0xfffe
	v_cmp_ge_u64_e64 s31, s[28:29], s[6:7]
	s_mul_u64 s[34:35], s[38:39], s[34:35]
	s_add_nc_u64 s[26:27], s[26:27], 8
	s_wait_alu 0xfffe
	s_sub_nc_u64 s[24:25], s[24:25], s[34:35]
	s_add_nc_u64 s[8:9], s[8:9], 8
	s_and_b32 vcc_lo, exec_lo, s31
	s_wait_kmcnt 0x0
	s_wait_alu 0xfffe
	s_mul_u64 s[24:25], s[36:37], s[24:25]
	s_wait_alu 0xfffe
	s_add_nc_u64 s[0:1], s[24:25], s[0:1]
	s_cbranch_vccnz .LBB0_12
; %bb.11:                               ;   in Loop: Header=BB0_6 Depth=1
	s_mov_b64 s[24:25], s[38:39]
	s_branch .LBB0_6
.LBB0_12:
	v_cmp_lt_u64_e64 s8, s[18:19], s[20:21]
	s_mov_b64 s[24:25], 0
	s_delay_alu instid0(VALU_DEP_1)
	s_and_b32 vcc_lo, exec_lo, s8
	s_cbranch_vccnz .LBB0_14
; %bb.13:
	v_cvt_f32_u32_e32 v1, s20
	s_sub_co_i32 s9, 0, s20
	s_mov_b32 s25, 0
	s_delay_alu instid0(VALU_DEP_1) | instskip(NEXT) | instid1(TRANS32_DEP_1)
	v_rcp_iflag_f32_e32 v1, v1
	v_mul_f32_e32 v1, 0x4f7ffffe, v1
	s_delay_alu instid0(VALU_DEP_1) | instskip(NEXT) | instid1(VALU_DEP_1)
	v_cvt_u32_f32_e32 v1, v1
	v_readfirstlane_b32 s8, v1
	s_delay_alu instid0(VALU_DEP_1) | instskip(NEXT) | instid1(SALU_CYCLE_1)
	s_mul_i32 s9, s9, s8
	s_mul_hi_u32 s9, s8, s9
	s_delay_alu instid0(SALU_CYCLE_1) | instskip(NEXT) | instid1(SALU_CYCLE_1)
	s_add_co_i32 s8, s8, s9
	s_mul_hi_u32 s8, s18, s8
	s_delay_alu instid0(SALU_CYCLE_1) | instskip(NEXT) | instid1(SALU_CYCLE_1)
	s_mul_i32 s9, s8, s20
	s_sub_co_i32 s9, s18, s9
	s_add_co_i32 s18, s8, 1
	s_sub_co_i32 s19, s9, s20
	s_cmp_ge_u32 s9, s20
	s_wait_alu 0xfffe
	s_cselect_b32 s8, s18, s8
	s_cselect_b32 s9, s19, s9
	s_add_co_i32 s18, s8, 1
	s_cmp_ge_u32 s9, s20
	s_wait_alu 0xfffe
	s_cselect_b32 s24, s18, s8
.LBB0_14:
	v_mul_hi_u32 v24, 0x2aaaaaab, v0
	s_lshl_b64 s[6:7], s[6:7], 3
	s_wait_alu 0xfffe
	s_add_nc_u64 s[6:7], s[10:11], s[6:7]
	s_load_b64 s[8:9], s[6:7], 0x0
	s_delay_alu instid0(VALU_DEP_1) | instskip(SKIP_1) | instid1(VALU_DEP_2)
	v_mul_u32_u24_e32 v1, 6, v24
	v_mad_co_u64_u32 v[7:8], null, s12, v24, 0
	v_sub_nc_u32_e32 v1, v0, v1
	s_delay_alu instid0(VALU_DEP_1) | instskip(NEXT) | instid1(VALU_DEP_3)
	v_mad_co_u64_u32 v[9:10], null, s14, v1, 0
	v_mov_b32_e32 v2, v8
	v_add_co_u32 v11, s6, s22, v1
	s_wait_alu 0xf1ff
	v_add_co_ci_u32_e64 v12, null, s23, 0, s6
	s_add_nc_u64 s[6:7], s[22:23], 6
	s_delay_alu instid0(VALU_DEP_4)
	v_mov_b32_e32 v3, v10
	s_wait_alu 0xfffe
	v_cmp_le_u64_e64 s6, s[6:7], s[4:5]
	v_cmp_gt_u64_e32 vcc_lo, s[4:5], v[11:12]
	s_wait_kmcnt 0x0
	s_mul_u64 s[4:5], s[8:9], s[24:25]
	s_wait_alu 0xfffe
	s_add_nc_u64 s[4:5], s[4:5], s[0:1]
	v_mad_co_u64_u32 v[4:5], null, s13, v24, v[2:3]
	s_or_b32 s1, s6, vcc_lo
	s_delay_alu instid0(VALU_DEP_1) | instskip(SKIP_1) | instid1(VALU_DEP_2)
	v_mad_co_u64_u32 v[2:3], null, s15, v1, v[3:4]
	v_dual_mov_b32 v3, 0 :: v_dual_mov_b32 v8, v4
	v_mov_b32_e32 v10, v2
	v_mov_b32_e32 v2, 0
	s_and_saveexec_b32 s7, s1
	s_cbranch_execz .LBB0_16
; %bb.15:
	s_wait_alu 0xfffe
	v_add3_u32 v4, s4, v9, v7
	v_mov_b32_e32 v5, 0
	s_delay_alu instid0(VALU_DEP_1) | instskip(NEXT) | instid1(VALU_DEP_1)
	v_lshlrev_b64_e32 v[4:5], 2, v[4:5]
	v_add_co_u32 v4, s0, s2, v4
	s_delay_alu instid0(VALU_DEP_1)
	v_add_co_ci_u32_e64 v5, s0, s3, v5, s0
	global_load_b32 v2, v[4:5], off
.LBB0_16:
	s_wait_alu 0xfffe
	s_or_b32 exec_lo, exec_lo, s7
	s_and_saveexec_b32 s7, s1
	s_cbranch_execz .LBB0_18
; %bb.17:
	v_dual_mov_b32 v4, 0 :: v_dual_add_nc_u32 v3, 56, v24
	s_delay_alu instid0(VALU_DEP_1) | instskip(NEXT) | instid1(VALU_DEP_1)
	v_mul_lo_u32 v3, s12, v3
	v_add3_u32 v3, s4, v9, v3
	s_delay_alu instid0(VALU_DEP_1) | instskip(NEXT) | instid1(VALU_DEP_1)
	v_lshlrev_b64_e32 v[3:4], 2, v[3:4]
	v_add_co_u32 v3, s0, s2, v3
	s_wait_alu 0xf1ff
	s_delay_alu instid0(VALU_DEP_2)
	v_add_co_ci_u32_e64 v4, s0, s3, v4, s0
	global_load_b32 v3, v[3:4], off
.LBB0_18:
	s_wait_alu 0xfffe
	s_or_b32 exec_lo, exec_lo, s7
	v_dual_mov_b32 v4, 0 :: v_dual_mov_b32 v5, 0
	s_and_saveexec_b32 s7, s1
	s_cbranch_execz .LBB0_20
; %bb.19:
	v_dual_mov_b32 v6, 0 :: v_dual_add_nc_u32 v5, 0x70, v24
	s_delay_alu instid0(VALU_DEP_1) | instskip(NEXT) | instid1(VALU_DEP_1)
	v_mul_lo_u32 v5, s12, v5
	v_add3_u32 v5, s4, v9, v5
	s_delay_alu instid0(VALU_DEP_1) | instskip(NEXT) | instid1(VALU_DEP_1)
	v_lshlrev_b64_e32 v[5:6], 2, v[5:6]
	v_add_co_u32 v5, s0, s2, v5
	s_wait_alu 0xf1ff
	s_delay_alu instid0(VALU_DEP_2)
	v_add_co_ci_u32_e64 v6, s0, s3, v6, s0
	global_load_b32 v5, v[5:6], off
.LBB0_20:
	s_wait_alu 0xfffe
	s_or_b32 exec_lo, exec_lo, s7
	v_add_nc_u32_e32 v14, 0xa8, v24
	s_delay_alu instid0(VALU_DEP_1) | instskip(NEXT) | instid1(VALU_DEP_1)
	v_mad_co_u64_u32 v[12:13], null, s12, v14, 0
	v_mov_b32_e32 v6, v13
	s_delay_alu instid0(VALU_DEP_1)
	v_mad_co_u64_u32 v[13:14], null, s13, v14, v[6:7]
	s_and_saveexec_b32 s7, s1
	s_cbranch_execz .LBB0_22
; %bb.21:
	s_delay_alu instid0(VALU_DEP_3) | instskip(SKIP_1) | instid1(VALU_DEP_1)
	v_add3_u32 v14, s4, v9, v12
	v_mov_b32_e32 v15, 0
	v_lshlrev_b64_e32 v[14:15], 2, v[14:15]
	s_delay_alu instid0(VALU_DEP_1) | instskip(SKIP_1) | instid1(VALU_DEP_2)
	v_add_co_u32 v14, s0, s2, v14
	s_wait_alu 0xf1ff
	v_add_co_ci_u32_e64 v15, s0, s3, v15, s0
	global_load_b32 v4, v[14:15], off
.LBB0_22:
	s_wait_alu 0xfffe
	s_or_b32 exec_lo, exec_lo, s7
	v_mov_b32_e32 v6, 0
	v_mov_b32_e32 v14, 0
	s_and_saveexec_b32 s7, s1
	s_cbranch_execz .LBB0_24
; %bb.23:
	v_dual_mov_b32 v15, 0 :: v_dual_add_nc_u32 v14, 0xe0, v24
	s_delay_alu instid0(VALU_DEP_1) | instskip(NEXT) | instid1(VALU_DEP_1)
	v_mul_lo_u32 v14, s12, v14
	v_add3_u32 v14, s4, v9, v14
	s_delay_alu instid0(VALU_DEP_1) | instskip(NEXT) | instid1(VALU_DEP_1)
	v_lshlrev_b64_e32 v[14:15], 2, v[14:15]
	v_add_co_u32 v14, s0, s2, v14
	s_wait_alu 0xf1ff
	s_delay_alu instid0(VALU_DEP_2)
	v_add_co_ci_u32_e64 v15, s0, s3, v15, s0
	global_load_b32 v14, v[14:15], off
.LBB0_24:
	s_wait_alu 0xfffe
	s_or_b32 exec_lo, exec_lo, s7
	s_and_saveexec_b32 s7, s1
	s_cbranch_execz .LBB0_26
; %bb.25:
	v_add_nc_u32_e32 v6, 0x118, v24
	v_mov_b32_e32 v16, 0
	s_delay_alu instid0(VALU_DEP_2) | instskip(NEXT) | instid1(VALU_DEP_1)
	v_mul_lo_u32 v6, s12, v6
	v_add3_u32 v15, s4, v9, v6
	s_delay_alu instid0(VALU_DEP_1) | instskip(NEXT) | instid1(VALU_DEP_1)
	v_lshlrev_b64_e32 v[15:16], 2, v[15:16]
	v_add_co_u32 v15, s0, s2, v15
	s_wait_alu 0xf1ff
	s_delay_alu instid0(VALU_DEP_2)
	v_add_co_ci_u32_e64 v16, s0, s3, v16, s0
	global_load_b32 v6, v[15:16], off
.LBB0_26:
	s_wait_alu 0xfffe
	s_or_b32 exec_lo, exec_lo, s7
	s_wait_loadcnt 0x0
	v_pk_add_f16 v15, v4, v6
	v_pk_add_f16 v16, v2, v5
	;; [unrolled: 1-line block ×3, first 2 shown]
	v_pk_add_f16 v4, v4, v6 neg_lo:[0,1] neg_hi:[0,1]
	v_mad_u32_u24 v23, 0x90, v24, 0
	v_pk_fma_f16 v3, v15, 0.5, v3 op_sel_hi:[1,0,1] neg_lo:[1,0,0] neg_hi:[1,0,0]
	v_pk_add_f16 v15, v5, v14
	v_pk_add_f16 v5, v5, v14 neg_lo:[0,1] neg_hi:[0,1]
	v_pk_add_f16 v14, v16, v14
	v_pk_add_f16 v6, v17, v6
	v_pk_fma_f16 v16, 0x3aee, v4, v3 op_sel:[0,0,1] op_sel_hi:[0,1,0]
	v_pk_fma_f16 v3, 0x3aee, v4, v3 op_sel:[0,0,1] op_sel_hi:[0,1,0] neg_lo:[0,1,0] neg_hi:[0,1,0]
	v_pk_fma_f16 v4, v15, 0.5, v2 op_sel_hi:[1,0,1] neg_lo:[1,0,0] neg_hi:[1,0,0]
	v_pk_mul_f16 v5, 0x3aee, v5 op_sel_hi:[0,1]
	v_lshl_add_u32 v18, v1, 2, v23
	v_lshrrev_b32_e32 v15, 16, v16
	v_mul_f16_e32 v17, 0x3aee, v3
	v_bfi_b32 v16, 0xffff, v16, v3
	v_pk_add_f16 v19, v4, v5 op_sel:[0,1] op_sel_hi:[1,0] neg_lo:[0,1] neg_hi:[0,1]
	v_pk_add_f16 v4, v4, v5 op_sel:[0,1] op_sel_hi:[1,0]
	v_mul_f16_e32 v20, 0xbaee, v15
	v_fmac_f16_e32 v17, 0.5, v15
	v_pk_mul_f16 v15, v16, 0.5 op_sel_hi:[1,0]
	v_lshrrev_b32_e32 v21, 16, v19
	v_pk_add_f16 v2, v14, v6
	v_fmac_f16_e32 v20, 0.5, v3
	v_bfi_b32 v3, 0xffff, v19, v4
	v_pk_fma_f16 v19, 0xbaee3aee, v16, v15 op_sel:[0,0,1] op_sel_hi:[1,1,0] neg_lo:[0,0,1] neg_hi:[0,0,1]
	v_add_f16_e32 v5, v4, v17
	v_sub_f16_e32 v4, v4, v17
	v_add_f16_e32 v16, v21, v20
	v_sub_f16_e32 v17, v21, v20
	v_pk_add_f16 v14, v14, v6 neg_lo:[0,1] neg_hi:[0,1]
	v_pk_add_f16 v15, v3, v19
	v_pk_add_f16 v6, v3, v19 neg_lo:[0,1] neg_hi:[0,1]
	v_pack_b32_f16 v3, v5, v16
	v_pack_b32_f16 v19, v4, v17
	v_cmp_gt_u32_e64 s0, 0x120, v0
	v_lshrrev_b32_e32 v22, 16, v14
	ds_store_2addr_b32 v18, v15, v14 offset0:12 offset1:18
	ds_store_2addr_b32 v18, v2, v3 offset1:6
	ds_store_2addr_b32 v18, v19, v6 offset0:24 offset1:30
	v_lshrrev_b32_e32 v18, 16, v15
	v_lshrrev_b32_e32 v20, 16, v6
	v_lshlrev_b32_e32 v1, 2, v1
	global_wb scope:SCOPE_SE
	s_wait_dscnt 0x0
	s_barrier_signal -1
	s_barrier_wait -1
	global_inv scope:SCOPE_SE
                                        ; implicit-def: $vgpr21
                                        ; implicit-def: $vgpr19
	s_and_saveexec_b32 s1, s0
	s_cbranch_execz .LBB0_28
; %bb.27:
	v_mul_i32_i24_e32 v2, 0xffffff88, v24
	s_delay_alu instid0(VALU_DEP_1)
	v_add3_u32 v2, v23, v2, v1
	ds_load_b32 v5, v2 offset:1152
	ds_load_b32 v15, v2 offset:2304
	;; [unrolled: 1-line block ×6, first 2 shown]
	ds_load_b32 v2, v2
	s_wait_dscnt 0x6
	v_lshrrev_b32_e32 v16, 16, v5
	s_wait_dscnt 0x5
	v_lshrrev_b32_e32 v18, 16, v15
	;; [unrolled: 2-line block ×6, first 2 shown]
.LBB0_28:
	s_wait_alu 0xfffe
	s_or_b32 exec_lo, exec_lo, s1
	v_mul_hi_u32 v3, 0x2aaaaaab, v24
	s_delay_alu instid0(VALU_DEP_1) | instskip(NEXT) | instid1(VALU_DEP_1)
	v_mul_u32_u24_e32 v3, 6, v3
	v_sub_nc_u32_e32 v3, v24, v3
	s_delay_alu instid0(VALU_DEP_1) | instskip(NEXT) | instid1(VALU_DEP_1)
	v_mul_u32_u24_e32 v23, 6, v3
	v_lshlrev_b32_e32 v23, 2, v23
	s_clause 0x1
	global_load_b128 v[25:28], v23, s[16:17]
	global_load_b64 v[29:30], v23, s[16:17] offset:16
	global_wb scope:SCOPE_SE
	s_wait_loadcnt_dscnt 0x0
	s_barrier_signal -1
	s_barrier_wait -1
	global_inv scope:SCOPE_SE
	v_lshrrev_b32_e32 v23, 16, v25
	v_lshrrev_b32_e32 v31, 16, v26
	;; [unrolled: 1-line block ×6, first 2 shown]
	v_mul_f16_e32 v34, v22, v27
	v_mul_f16_e32 v35, v17, v28
	v_mul_f16_e32 v38, v16, v23
	v_mul_f16_e32 v23, v5, v23
	v_mul_f16_e32 v39, v18, v31
	v_mul_f16_e32 v31, v15, v31
	v_mul_f16_e32 v22, v22, v32
	v_mul_f16_e32 v17, v17, v33
	v_mul_f16_e32 v40, v20, v36
	v_mul_f16_e32 v36, v6, v36
	v_mul_f16_e32 v41, v21, v37
	v_mul_f16_e32 v37, v19, v37
	v_mul_f16_e32 v32, v14, v32
	v_mul_f16_e32 v33, v4, v33
	v_fma_f16 v5, v5, v25, -v38
	v_fmac_f16_e32 v23, v16, v25
	v_fma_f16 v15, v15, v26, -v39
	v_fmac_f16_e32 v31, v18, v26
	;; [unrolled: 2-line block ×3, first 2 shown]
	v_fma_f16 v16, v19, v30, -v41
	v_fma_f16 v4, v4, v28, -v17
	v_fmac_f16_e32 v36, v20, v29
	v_fma_f16 v6, v6, v29, -v40
	v_add_f16_e32 v17, v23, v37
	v_sub_f16_e32 v18, v5, v16
	v_sub_f16_e32 v19, v23, v37
	v_add_f16_e32 v20, v31, v36
	v_sub_f16_e32 v21, v15, v6
	v_sub_f16_e32 v23, v4, v14
	v_pack_b32_f16 v5, v5, v35
	v_pack_b32_f16 v16, v16, v33
	;; [unrolled: 1-line block ×4, first 2 shown]
	v_add_f16_e32 v25, v23, v21
	v_pack_b32_f16 v14, v14, v20
	v_pk_add_f16 v5, v5, v16
	v_pack_b32_f16 v4, v4, v17
	v_pk_add_f16 v6, v15, v6
	v_sub_f16_e32 v27, v23, v21
	v_sub_f16_e32 v23, v18, v23
	v_sub_f16_e32 v21, v21, v18
	v_add_f16_e32 v15, v25, v18
	v_lshrrev_b32_e32 v16, 16, v6
	v_lshrrev_b32_e32 v18, 16, v5
	v_pk_add_f16 v25, v6, v5
	v_pk_add_f16 v4, v14, v4
	v_sub_f16_e32 v22, v31, v36
	v_sub_f16_e32 v29, v6, v5
	v_mul_f16_e32 v14, 0xb846, v27
	v_mul_f16_e32 v27, 0x3b00, v21
	v_sub_f16_e32 v16, v18, v16
	v_sub_f16_e32 v5, v5, v4
	v_lshrrev_b32_e32 v18, 16, v25
	v_sub_f16_e32 v6, v4, v6
	v_pk_add_f16 v4, v25, v4
	v_sub_f16_e32 v26, v20, v17
	v_sub_f16_e32 v28, v22, v19
	v_fmamk_f16 v31, v23, 0x3574, v14
	v_fma_f16 v21, v21, 0x3b00, -v14
	v_fma_f16 v23, v23, 0xb574, -v27
	v_sub_f16_e32 v17, v17, v18
	v_sub_f16_e32 v18, v18, v20
	v_add_f16_e32 v20, v16, v22
	v_sub_f16_e32 v22, v16, v22
	v_pk_add_f16 v14, v2, v4
	v_mul_f16_e32 v30, 0x3b00, v28
	v_sub_f16_e32 v16, v19, v16
	v_lshrrev_b32_e32 v2, 16, v4
	v_mul_f16_e32 v5, 0x3a52, v5
	v_mul_f16_e32 v27, 0x2b26, v6
	v_fmac_f16_e32 v31, 0x370e, v15
	v_fmac_f16_e32 v21, 0x370e, v15
	;; [unrolled: 1-line block ×3, first 2 shown]
	v_add_f16_e32 v15, v20, v19
	v_mul_f16_e32 v17, 0x3a52, v17
	v_mul_f16_e32 v19, 0x2b26, v18
	;; [unrolled: 1-line block ×3, first 2 shown]
	v_lshrrev_b32_e32 v25, 16, v14
	v_fmamk_f16 v4, v4, 0xbcab, v14
	v_fmamk_f16 v6, v6, 0x2b26, v5
	v_fma_f16 v22, v29, 0x39e0, -v27
	v_fma_f16 v5, v29, 0xb9e0, -v5
	;; [unrolled: 1-line block ×3, first 2 shown]
	v_fmamk_f16 v2, v2, 0xbcab, v25
	v_fmamk_f16 v18, v18, 0x2b26, v17
	v_fma_f16 v19, v26, 0x39e0, -v19
	v_fma_f16 v17, v26, 0xb9e0, -v17
	v_fmamk_f16 v32, v16, 0x3574, v20
	v_fma_f16 v20, v28, 0x3b00, -v20
	v_add_f16_e32 v6, v6, v4
	v_add_f16_e32 v22, v22, v4
	;; [unrolled: 1-line block ×3, first 2 shown]
	v_fmac_f16_e32 v27, 0x370e, v15
	v_add_f16_e32 v5, v18, v2
	v_add_f16_e32 v29, v19, v2
	v_fmac_f16_e32 v32, 0x370e, v15
	v_add_f16_e32 v2, v17, v2
	v_fmac_f16_e32 v20, 0x370e, v15
	v_add_f16_e32 v16, v27, v4
	v_sub_f16_e32 v19, v4, v27
	v_add_f16_e32 v15, v32, v6
	v_sub_f16_e32 v26, v5, v31
	v_sub_f16_e32 v27, v2, v23
	;; [unrolled: 1-line block ×3, first 2 shown]
	v_add_f16_e32 v28, v21, v29
	v_add_f16_e32 v18, v20, v22
	v_sub_f16_e32 v29, v29, v21
	v_add_f16_e32 v30, v23, v2
	v_sub_f16_e32 v20, v6, v32
	v_add_f16_e32 v31, v31, v5
	s_and_saveexec_b32 s1, s0
	s_cbranch_execz .LBB0_30
; %bb.29:
	v_mul_lo_u16 v2, v24, 43
	v_perm_b32 v4, v27, v16, 0x5040100
	v_perm_b32 v5, v28, v17, 0x5040100
	;; [unrolled: 1-line block ×4, first 2 shown]
	v_lshrrev_b16 v2, 8, v2
	v_perm_b32 v22, v31, v20, 0x5040100
	s_delay_alu instid0(VALU_DEP_2) | instskip(NEXT) | instid1(VALU_DEP_1)
	v_and_b32_e32 v2, 0xffff, v2
	v_mad_u32_u24 v2, v2, 42, v3
	v_perm_b32 v3, v26, v15, 0x5040100
	s_delay_alu instid0(VALU_DEP_2) | instskip(NEXT) | instid1(VALU_DEP_1)
	v_mul_i32_i24_e32 v2, 24, v2
	v_add3_u32 v2, 0, v2, v1
	ds_store_2addr_b32 v2, v14, v3 offset1:36
	ds_store_2addr_b32 v2, v4, v5 offset0:72 offset1:108
	ds_store_2addr_b32 v2, v6, v21 offset0:144 offset1:180
	ds_store_b32 v2, v22 offset:864
.LBB0_30:
	s_wait_alu 0xfffe
	s_or_b32 exec_lo, exec_lo, s1
	v_cmp_gt_u32_e64 s0, 0xfc, v0
	global_wb scope:SCOPE_SE
	s_wait_dscnt 0x0
	s_barrier_signal -1
	s_barrier_wait -1
	global_inv scope:SCOPE_SE
                                        ; implicit-def: $vgpr32
	s_and_saveexec_b32 s1, s0
	s_cbranch_execz .LBB0_32
; %bb.31:
	v_mul_u32_u24_e32 v0, 24, v24
	s_delay_alu instid0(VALU_DEP_1) | instskip(NEXT) | instid1(VALU_DEP_1)
	v_add3_u32 v0, 0, v0, v1
	v_add_nc_u32_e32 v1, 0x7e0, v0
	v_add_nc_u32_e32 v2, 0xfc0, v0
	ds_load_2addr_b32 v[14:15], v0 offset1:252
	v_add_nc_u32_e32 v0, 0x17a0, v0
	ds_load_2addr_b32 v[16:17], v1 offset1:252
	ds_load_2addr_b32 v[18:19], v2 offset1:252
	;; [unrolled: 1-line block ×3, first 2 shown]
	s_wait_dscnt 0x3
	v_lshrrev_b32_e32 v25, 16, v14
	v_lshrrev_b32_e32 v26, 16, v15
	s_wait_dscnt 0x2
	v_lshrrev_b32_e32 v27, 16, v16
	v_lshrrev_b32_e32 v28, 16, v17
	;; [unrolled: 3-line block ×4, first 2 shown]
.LBB0_32:
	s_wait_alu 0xfffe
	s_or_b32 exec_lo, exec_lo, s1
	v_mul_hi_u32 v0, 0x6186187, v24
	v_mul_lo_u32 v36, v11, 42
	v_lshlrev_b64_e32 v[22:23], 2, v[9:10]
	v_lshlrev_b64_e32 v[9:10], 2, v[7:8]
	v_add_nc_u32_e32 v35, 42, v24
	v_add_nc_u32_e32 v34, 0x54, v24
	v_lshlrev_b64_e32 v[7:8], 2, v[12:13]
	v_add_nc_u32_e32 v13, 0xd2, v24
	v_mul_u32_u24_e32 v0, 42, v0
	v_add_nc_u32_e32 v12, 0x126, v24
	s_add_co_i32 s1, 0, 0x1f80
	s_delay_alu instid0(VALU_DEP_2) | instskip(NEXT) | instid1(VALU_DEP_1)
	v_sub_nc_u32_e32 v33, v24, v0
	v_mul_u32_u24_e32 v0, 7, v33
	v_mul_lo_u32 v37, v33, v11
	v_add_nc_u32_e32 v33, 0x7e, v24
	v_add_nc_u32_e32 v11, 0xfc, v24
	s_delay_alu instid0(VALU_DEP_4)
	v_lshlrev_b32_e32 v4, 2, v0
	s_clause 0x1
	global_load_b128 v[0:3], v4, s[16:17] offset:144
	global_load_b96 v[4:6], v4, s[16:17] offset:160
	v_and_b32_e32 v38, 31, v37
	v_lshrrev_b32_e32 v39, 3, v37
	v_lshrrev_b32_e32 v40, 8, v37
	v_add_nc_u32_e32 v37, v37, v36
	s_delay_alu instid0(VALU_DEP_4) | instskip(NEXT) | instid1(VALU_DEP_4)
	v_lshl_add_u32 v24, v38, 2, 0
	v_and_b32_e32 v38, 0x7c, v39
	s_delay_alu instid0(VALU_DEP_4) | instskip(NEXT) | instid1(VALU_DEP_4)
	v_and_b32_e32 v39, 0x7c, v40
	v_and_b32_e32 v40, 31, v37
	v_lshrrev_b32_e32 v41, 3, v37
	v_lshrrev_b32_e32 v42, 8, v37
	v_add_nc_u32_e32 v37, v37, v36
	ds_load_b32 v24, v24 offset:8064
	s_wait_alu 0xfffe
	v_add_nc_u32_e32 v38, s1, v38
	v_and_b32_e32 v41, 0x7c, v41
	v_and_b32_e32 v42, 0x7c, v42
	v_lshrrev_b32_e32 v44, 3, v37
	v_and_b32_e32 v43, 31, v37
	v_lshrrev_b32_e32 v45, 8, v37
	v_add_nc_u32_e32 v37, v37, v36
	v_add_nc_u32_e32 v39, s1, v39
	v_and_b32_e32 v44, 0x7c, v44
	v_lshl_add_u32 v40, v40, 2, 0
	v_add_nc_u32_e32 v41, s1, v41
	v_and_b32_e32 v46, 31, v37
	v_lshrrev_b32_e32 v47, 3, v37
	v_lshrrev_b32_e32 v48, 8, v37
	v_add_nc_u32_e32 v37, v37, v36
	v_add_nc_u32_e32 v42, s1, v42
	v_lshl_add_u32 v43, v43, 2, 0
	v_add_nc_u32_e32 v44, s1, v44
	ds_load_b32 v38, v38 offset:128
	ds_load_b32 v39, v39 offset:256
	;; [unrolled: 1-line block ×7, first 2 shown]
	v_and_b32_e32 v49, 31, v37
	v_lshrrev_b32_e32 v50, 3, v37
	v_lshrrev_b32_e32 v51, 8, v37
	v_add_nc_u32_e32 v37, v37, v36
	v_and_b32_e32 v45, 0x7c, v45
	v_and_b32_e32 v47, 0x7c, v47
	;; [unrolled: 1-line block ×5, first 2 shown]
	v_lshrrev_b32_e32 v53, 3, v37
	v_lshrrev_b32_e32 v54, 8, v37
	v_add_nc_u32_e32 v37, v37, v36
	v_and_b32_e32 v51, 0x7c, v51
	v_add_nc_u32_e32 v45, s1, v45
	v_lshl_add_u32 v46, v46, 2, 0
	v_add_nc_u32_e32 v47, s1, v47
	v_add_nc_u32_e32 v36, v37, v36
	;; [unrolled: 1-line block ×3, first 2 shown]
	v_lshl_add_u32 v49, v49, 2, 0
	v_add_nc_u32_e32 v50, s1, v50
	v_add_nc_u32_e32 v51, s1, v51
	v_lshl_add_u32 v52, v52, 2, 0
	s_wait_dscnt 0x7
	v_lshrrev_b32_e32 v55, 16, v24
	v_and_b32_e32 v56, 31, v37
	v_lshrrev_b32_e32 v57, 3, v37
	v_lshrrev_b32_e32 v58, 8, v37
	s_wait_dscnt 0x6
	v_lshrrev_b32_e32 v37, 16, v38
	ds_load_b32 v45, v45 offset:256
	ds_load_b32 v46, v46 offset:8064
	;; [unrolled: 1-line block ×8, first 2 shown]
	v_and_b32_e32 v61, 31, v36
	v_lshrrev_b32_e32 v62, 3, v36
	v_lshrrev_b32_e32 v36, 8, v36
	v_and_b32_e32 v53, 0x7c, v53
	v_and_b32_e32 v54, 0x7c, v54
	s_wait_dscnt 0xc
	v_lshrrev_b32_e32 v60, 16, v40
	v_and_b32_e32 v57, 0x7c, v57
	v_mul_f16_e32 v63, v55, v37
	v_mul_f16_e32 v37, v24, v37
	s_wait_dscnt 0xb
	v_lshrrev_b32_e32 v64, 16, v41
	v_and_b32_e32 v58, 0x7c, v58
	v_and_b32_e32 v62, 0x7c, v62
	;; [unrolled: 1-line block ×3, first 2 shown]
	v_add_nc_u32_e32 v53, s1, v53
	v_add_nc_u32_e32 v54, s1, v54
	v_lshl_add_u32 v56, v56, 2, 0
	v_lshrrev_b32_e32 v59, 16, v39
	s_wait_dscnt 0x9
	v_lshrrev_b32_e32 v66, 16, v43
	v_add_nc_u32_e32 v57, s1, v57
	v_fma_f16 v24, v24, v38, -v63
	v_fmac_f16_e32 v37, v55, v38
	v_mul_f16_e32 v38, v60, v64
	v_mul_f16_e32 v55, v40, v64
	s_wait_dscnt 0x8
	v_lshrrev_b32_e32 v63, 16, v44
	v_add_nc_u32_e32 v58, s1, v58
	v_lshl_add_u32 v61, v61, 2, 0
	v_add_nc_u32_e32 v62, s1, v62
	v_add_nc_u32_e32 v36, s1, v36
	ds_load_b32 v53, v53 offset:128
	ds_load_b32 v54, v54 offset:256
	;; [unrolled: 1-line block ×8, first 2 shown]
	v_lshrrev_b32_e32 v65, 16, v42
	s_wait_dscnt 0xe
	v_lshrrev_b32_e32 v67, 16, v46
	v_mul_f16_e32 v68, v37, v59
	v_mul_f16_e32 v59, v24, v59
	v_fma_f16 v38, v40, v41, -v38
	v_fmac_f16_e32 v55, v60, v41
	v_mul_f16_e32 v40, v66, v63
	v_mul_f16_e32 v41, v43, v63
	s_wait_dscnt 0xd
	v_lshrrev_b32_e32 v60, 16, v47
	v_lshrrev_b32_e32 v64, 16, v45
	s_wait_dscnt 0xb
	v_lshrrev_b32_e32 v69, 16, v49
	v_fma_f16 v24, v39, v24, -v68
	v_fmac_f16_e32 v59, v39, v37
	v_mul_f16_e32 v37, v55, v65
	v_mul_f16_e32 v39, v38, v65
	v_fma_f16 v40, v43, v44, -v40
	v_fmac_f16_e32 v41, v66, v44
	v_mul_f16_e32 v43, v67, v60
	v_mul_f16_e32 v44, v46, v60
	s_wait_dscnt 0xa
	v_lshrrev_b32_e32 v60, 16, v50
	v_lshrrev_b32_e32 v63, 16, v48
	s_wait_dscnt 0x8
	v_lshrrev_b32_e32 v66, 16, v52
	v_fma_f16 v37, v42, v38, -v37
	v_fmac_f16_e32 v39, v42, v55
	v_mul_f16_e32 v38, v41, v64
	v_mul_f16_e32 v42, v40, v64
	v_fma_f16 v43, v46, v47, -v43
	v_fmac_f16_e32 v44, v67, v47
	v_mul_f16_e32 v46, v69, v60
	v_mul_f16_e32 v47, v49, v60
	s_wait_dscnt 0x7
	v_lshrrev_b32_e32 v55, 16, v53
	v_lshrrev_b32_e32 v65, 16, v51
	v_fma_f16 v38, v45, v40, -v38
	v_fmac_f16_e32 v42, v45, v41
	v_mul_f16_e32 v40, v44, v63
	v_mul_f16_e32 v41, v43, v63
	v_fma_f16 v45, v49, v50, -v46
	v_fmac_f16_e32 v47, v69, v50
	v_mul_f16_e32 v46, v66, v55
	s_wait_dscnt 0x5
	v_lshrrev_b32_e32 v64, 16, v56
	v_mul_f16_e32 v49, v52, v55
	s_wait_dscnt 0x4
	v_lshrrev_b32_e32 v50, 16, v57
	s_wait_dscnt 0x2
	v_lshrrev_b32_e32 v63, 16, v61
	v_fma_f16 v40, v48, v43, -v40
	v_fmac_f16_e32 v41, v48, v44
	v_mul_f16_e32 v43, v47, v65
	v_mul_f16_e32 v44, v45, v65
	v_fma_f16 v46, v52, v53, -v46
	s_wait_dscnt 0x1
	v_lshrrev_b32_e32 v52, 16, v62
	v_lshrrev_b32_e32 v60, 16, v54
	v_fmac_f16_e32 v49, v66, v53
	v_mul_f16_e32 v48, v64, v50
	v_mul_f16_e32 v50, v56, v50
	v_fma_f16 v43, v51, v45, -v43
	v_fmac_f16_e32 v44, v51, v47
	v_mul_f16_e32 v47, v61, v52
	v_mul_f16_e32 v51, v63, v52
	v_lshrrev_b32_e32 v55, 16, v58
	s_wait_dscnt 0x0
	v_lshrrev_b32_e32 v53, 16, v36
	v_mul_f16_e32 v45, v49, v60
	v_fmac_f16_e32 v50, v64, v57
	v_fma_f16 v48, v56, v57, -v48
	v_fmac_f16_e32 v47, v63, v62
	v_fma_f16 v51, v61, v62, -v51
	v_mul_f16_e32 v52, v46, v60
	v_fma_f16 v45, v54, v46, -v45
	v_mul_f16_e32 v46, v50, v55
	v_mul_f16_e32 v55, v48, v55
	;; [unrolled: 1-line block ×4, first 2 shown]
	v_fmac_f16_e32 v52, v54, v49
	v_fma_f16 v46, v58, v48, -v46
	v_fmac_f16_e32 v55, v58, v50
	v_fma_f16 v48, v36, v51, -v56
	v_fmac_f16_e32 v53, v36, v47
	s_and_b32 s1, s0, s6
	s_wait_loadcnt 0x1
	v_lshrrev_b32_e32 v36, 16, v0
	v_lshrrev_b32_e32 v47, 16, v1
	;; [unrolled: 1-line block ×4, first 2 shown]
	s_wait_loadcnt 0x0
	v_lshrrev_b32_e32 v51, 16, v4
	v_lshrrev_b32_e32 v54, 16, v5
	;; [unrolled: 1-line block ×3, first 2 shown]
	v_mul_f16_e32 v57, v26, v36
	v_mul_f16_e32 v36, v15, v36
	;; [unrolled: 1-line block ×14, first 2 shown]
	v_fma_f16 v15, v15, v0, -v57
	v_fmac_f16_e32 v36, v26, v0
	v_fma_f16 v0, v16, v1, -v58
	v_fmac_f16_e32 v47, v27, v1
	;; [unrolled: 2-line block ×7, first 2 shown]
	v_sub_f16_e32 v2, v14, v2
	v_sub_f16_e32 v6, v25, v50
	;; [unrolled: 1-line block ×8, first 2 shown]
	v_fma_f16 v14, v14, 2.0, -v2
	v_fma_f16 v19, v25, 2.0, -v6
	;; [unrolled: 1-line block ×8, first 2 shown]
	v_sub_f16_e32 v16, v2, v16
	v_add_f16_e32 v4, v6, v4
	v_sub_f16_e32 v18, v3, v18
	v_add_f16_e32 v5, v17, v5
	v_sub_f16_e32 v0, v14, v0
	v_sub_f16_e32 v20, v19, v20
	v_fma_f16 v2, v2, 2.0, -v16
	v_fma_f16 v6, v6, 2.0, -v4
	v_sub_f16_e32 v1, v15, v1
	v_sub_f16_e32 v25, v21, v25
	v_fma_f16 v3, v3, 2.0, -v18
	v_fma_f16 v17, v17, 2.0, -v5
	v_fmamk_f16 v26, v18, 0x39a8, v16
	v_fmamk_f16 v27, v5, 0x39a8, v4
	v_fma_f16 v14, v14, 2.0, -v0
	v_fma_f16 v19, v19, 2.0, -v20
	;; [unrolled: 1-line block ×4, first 2 shown]
	v_fmamk_f16 v28, v3, 0xb9a8, v2
	v_fmamk_f16 v29, v17, 0xb9a8, v6
	v_sub_f16_e32 v25, v0, v25
	v_add_f16_e32 v1, v20, v1
	v_fmac_f16_e32 v26, 0xb9a8, v5
	v_fmac_f16_e32 v27, 0x39a8, v18
	v_sub_f16_e32 v5, v14, v15
	v_sub_f16_e32 v15, v19, v21
	v_fmac_f16_e32 v28, 0xb9a8, v17
	v_fmac_f16_e32 v29, 0x39a8, v3
	v_fma_f16 v0, v0, 2.0, -v25
	v_fma_f16 v3, v20, 2.0, -v1
	v_fma_f16 v16, v16, 2.0, -v26
	v_fma_f16 v4, v4, 2.0, -v27
	v_mul_f16_e32 v17, v1, v55
	v_mul_f16_e32 v18, v25, v55
	;; [unrolled: 1-line block ×4, first 2 shown]
	v_fma_f16 v14, v14, 2.0, -v5
	v_fma_f16 v19, v19, 2.0, -v15
	;; [unrolled: 1-line block ×4, first 2 shown]
	v_mul_f16_e32 v30, v3, v42
	v_mul_f16_e32 v31, v0, v42
	;; [unrolled: 1-line block ×8, first 2 shown]
	v_fma_f16 v17, v25, v46, -v17
	v_fmac_f16_e32 v18, v1, v46
	v_fma_f16 v1, v26, v48, -v20
	v_fmac_f16_e32 v21, v27, v48
	v_mul_f16_e32 v20, v19, v59
	v_mul_f16_e32 v25, v14, v59
	;; [unrolled: 1-line block ×4, first 2 shown]
	v_fma_f16 v30, v0, v38, -v30
	v_fmac_f16_e32 v31, v3, v38
	v_fma_f16 v3, v16, v40, -v32
	v_fmac_f16_e32 v36, v4, v40
	;; [unrolled: 2-line block ×6, first 2 shown]
	v_perm_b32 v0, v18, v17, 0x5040100
	v_perm_b32 v5, v31, v30, 0x5040100
	;; [unrolled: 1-line block ×8, first 2 shown]
	s_wait_alu 0xfffe
	s_and_saveexec_b32 s7, s1
	s_cbranch_execz .LBB0_34
; %bb.33:
	v_mad_co_u64_u32 v[15:16], null, s12, v35, 0
	v_mad_co_u64_u32 v[17:18], null, s12, v34, 0
	;; [unrolled: 1-line block ×3, first 2 shown]
	s_lshl_b64 s[8:9], s[4:5], 2
	v_mad_co_u64_u32 v[28:29], null, s12, v13, 0
	s_add_nc_u64 s[8:9], s[2:3], s[8:9]
	s_delay_alu instid0(VALU_DEP_3) | instskip(NEXT) | instid1(VALU_DEP_4)
	v_mad_co_u64_u32 v[24:25], null, s13, v35, v[16:17]
	v_mov_b32_e32 v16, v18
	v_add_co_u32 v32, s1, s8, v22
	s_wait_alu 0xf1ff
	v_add_co_ci_u32_e64 v36, s1, s9, v23, s1
	v_mad_co_u64_u32 v[20:21], null, s13, v33, v[20:21]
	v_mov_b32_e32 v21, v29
	v_mad_co_u64_u32 v[25:26], null, s13, v34, v[16:17]
	v_add_co_u32 v26, s1, v32, v9
	s_wait_alu 0xf1ff
	v_add_co_ci_u32_e64 v27, s1, v36, v10, s1
	v_mov_b32_e32 v16, v24
	v_mad_co_u64_u32 v[30:31], null, s12, v12, 0
	global_store_b32 v[26:27], v14, off
	v_mad_co_u64_u32 v[26:27], null, s13, v13, v[21:22]
	v_mov_b32_e32 v18, v25
	v_lshlrev_b64_e32 v[15:16], 2, v[15:16]
	v_mad_co_u64_u32 v[24:25], null, s12, v11, 0
	s_delay_alu instid0(VALU_DEP_4) | instskip(NEXT) | instid1(VALU_DEP_4)
	v_mov_b32_e32 v29, v26
	v_lshlrev_b64_e32 v[17:18], 2, v[17:18]
	s_delay_alu instid0(VALU_DEP_4) | instskip(SKIP_2) | instid1(VALU_DEP_3)
	v_add_co_u32 v15, s1, v32, v15
	s_wait_alu 0xf1ff
	v_add_co_ci_u32_e64 v16, s1, v36, v16, s1
	v_add_co_u32 v17, s1, v32, v17
	s_wait_alu 0xf1ff
	v_add_co_ci_u32_e64 v18, s1, v36, v18, s1
	global_store_b32 v[15:16], v6, off
	v_mov_b32_e32 v15, v25
	global_store_b32 v[17:18], v5, off
	v_lshlrev_b64_e32 v[16:17], 2, v[19:20]
	s_delay_alu instid0(VALU_DEP_1) | instskip(SKIP_3) | instid1(VALU_DEP_4)
	v_mad_co_u64_u32 v[18:19], null, s13, v11, v[15:16]
	v_mov_b32_e32 v15, v31
	v_add_co_u32 v16, s1, v32, v16
	s_wait_alu 0xf1ff
	v_add_co_ci_u32_e64 v17, s1, v36, v17, s1
	v_add_co_u32 v26, s1, v32, v7
	s_delay_alu instid0(VALU_DEP_3) | instskip(SKIP_4) | instid1(VALU_DEP_4)
	v_mad_co_u64_u32 v[19:20], null, s13, v12, v[15:16]
	v_lshlrev_b64_e32 v[20:21], 2, v[28:29]
	v_mov_b32_e32 v25, v18
	s_wait_alu 0xf1ff
	v_add_co_ci_u32_e64 v27, s1, v36, v8, s1
	v_mov_b32_e32 v31, v19
	s_delay_alu instid0(VALU_DEP_3) | instskip(SKIP_4) | instid1(VALU_DEP_4)
	v_lshlrev_b64_e32 v[24:25], 2, v[24:25]
	v_add_co_u32 v18, s1, v32, v20
	s_wait_alu 0xf1ff
	v_add_co_ci_u32_e64 v19, s1, v36, v21, s1
	v_lshlrev_b64_e32 v[20:21], 2, v[30:31]
	v_add_co_u32 v24, s1, v32, v24
	s_wait_alu 0xf1ff
	v_add_co_ci_u32_e64 v25, s1, v36, v25, s1
	s_delay_alu instid0(VALU_DEP_3)
	v_add_co_u32 v20, s1, v32, v20
	s_wait_alu 0xf1ff
	v_add_co_ci_u32_e64 v21, s1, v36, v21, s1
	s_clause 0x4
	global_store_b32 v[16:17], v2, off
	global_store_b32 v[26:27], v3, off
	;; [unrolled: 1-line block ×5, first 2 shown]
.LBB0_34:
	s_wait_alu 0xfffe
	s_or_b32 exec_lo, exec_lo, s7
	s_xor_b32 s1, s6, -1
	s_and_b32 s0, s0, vcc_lo
	s_wait_alu 0xfffe
	s_and_b32 s0, s1, s0
	s_wait_alu 0xfffe
	s_and_saveexec_b32 s1, s0
	s_cbranch_execz .LBB0_36
; %bb.35:
	v_mad_co_u64_u32 v[15:16], null, s12, v35, 0
	v_mad_co_u64_u32 v[17:18], null, s12, v34, 0
	s_lshl_b64 s[0:1], s[4:5], 2
	v_mad_co_u64_u32 v[19:20], null, s12, v33, 0
	s_wait_alu 0xfffe
	s_add_nc_u64 s[0:1], s[2:3], s[0:1]
	v_mad_co_u64_u32 v[26:27], null, s12, v12, 0
	s_delay_alu instid0(VALU_DEP_3) | instskip(NEXT) | instid1(VALU_DEP_4)
	v_mad_co_u64_u32 v[24:25], null, s13, v35, v[16:17]
	v_mov_b32_e32 v16, v18
	s_wait_alu 0xfffe
	v_add_co_u32 v28, vcc_lo, s0, v22
	v_add_co_ci_u32_e32 v29, vcc_lo, s1, v23, vcc_lo
	s_delay_alu instid0(VALU_DEP_3) | instskip(SKIP_1) | instid1(VALU_DEP_4)
	v_mad_co_u64_u32 v[21:22], null, s13, v34, v[16:17]
	v_mov_b32_e32 v16, v24
	v_add_co_u32 v9, vcc_lo, v28, v9
	s_wait_alu 0xfffd
	v_add_co_ci_u32_e32 v10, vcc_lo, v29, v10, vcc_lo
	s_delay_alu instid0(VALU_DEP_3)
	v_lshlrev_b64_e32 v[15:16], 2, v[15:16]
	v_mov_b32_e32 v18, v21
	v_mad_co_u64_u32 v[24:25], null, s12, v11, 0
	global_store_b32 v[9:10], v14, off
	v_mad_co_u64_u32 v[22:23], null, s12, v13, 0
	v_add_co_u32 v9, vcc_lo, v28, v15
	v_lshlrev_b64_e32 v[14:15], 2, v[17:18]
	s_wait_alu 0xfffd
	v_add_co_ci_u32_e32 v10, vcc_lo, v29, v16, vcc_lo
	v_mad_co_u64_u32 v[16:17], null, s13, v33, v[20:21]
	v_mov_b32_e32 v17, v23
	s_delay_alu instid0(VALU_DEP_4)
	v_add_co_u32 v14, vcc_lo, v28, v14
	s_wait_alu 0xfffd
	v_add_co_ci_u32_e32 v15, vcc_lo, v29, v15, vcc_lo
	global_store_b32 v[9:10], v6, off
	v_mov_b32_e32 v6, v25
	global_store_b32 v[14:15], v5, off
	v_mad_co_u64_u32 v[5:6], null, s13, v11, v[6:7]
	v_mov_b32_e32 v6, v27
	s_delay_alu instid0(VALU_DEP_1) | instskip(NEXT) | instid1(VALU_DEP_3)
	v_mad_co_u64_u32 v[11:12], null, s13, v12, v[6:7]
	v_mov_b32_e32 v25, v5
	v_mad_co_u64_u32 v[17:18], null, s13, v13, v[17:18]
	s_delay_alu instid0(VALU_DEP_3) | instskip(NEXT) | instid1(VALU_DEP_1)
	v_dual_mov_b32 v20, v16 :: v_dual_mov_b32 v27, v11
	v_lshlrev_b64_e32 v[9:10], 2, v[19:20]
	s_delay_alu instid0(VALU_DEP_3) | instskip(NEXT) | instid1(VALU_DEP_2)
	v_mov_b32_e32 v23, v17
	v_add_co_u32 v9, vcc_lo, v28, v9
	s_delay_alu instid0(VALU_DEP_2) | instskip(SKIP_1) | instid1(VALU_DEP_4)
	v_lshlrev_b64_e32 v[12:13], 2, v[22:23]
	s_wait_alu 0xfffd
	v_add_co_ci_u32_e32 v10, vcc_lo, v29, v10, vcc_lo
	v_add_co_u32 v5, vcc_lo, v28, v7
	s_wait_alu 0xfffd
	v_add_co_ci_u32_e32 v6, vcc_lo, v29, v8, vcc_lo
	v_lshlrev_b64_e32 v[7:8], 2, v[24:25]
	v_add_co_u32 v11, vcc_lo, v28, v12
	s_wait_alu 0xfffd
	v_add_co_ci_u32_e32 v12, vcc_lo, v29, v13, vcc_lo
	v_lshlrev_b64_e32 v[13:14], 2, v[26:27]
	s_delay_alu instid0(VALU_DEP_4) | instskip(SKIP_2) | instid1(VALU_DEP_3)
	v_add_co_u32 v7, vcc_lo, v28, v7
	s_wait_alu 0xfffd
	v_add_co_ci_u32_e32 v8, vcc_lo, v29, v8, vcc_lo
	v_add_co_u32 v13, vcc_lo, v28, v13
	s_wait_alu 0xfffd
	v_add_co_ci_u32_e32 v14, vcc_lo, v29, v14, vcc_lo
	s_clause 0x4
	global_store_b32 v[9:10], v2, off
	global_store_b32 v[5:6], v3, off
	global_store_b32 v[11:12], v4, off
	global_store_b32 v[7:8], v0, off
	global_store_b32 v[13:14], v1, off
.LBB0_36:
	s_nop 0
	s_sendmsg sendmsg(MSG_DEALLOC_VGPRS)
	s_endpgm
	.section	.rodata,"a",@progbits
	.p2align	6, 0x0
	.amdhsa_kernel fft_rtc_fwd_len336_factors_6_7_8_wgs_336_tpt_56_half_ip_CI_sbcc_twdbase5_3step_dirReg_intrinsicRead
		.amdhsa_group_segment_fixed_size 0
		.amdhsa_private_segment_fixed_size 0
		.amdhsa_kernarg_size 96
		.amdhsa_user_sgpr_count 2
		.amdhsa_user_sgpr_dispatch_ptr 0
		.amdhsa_user_sgpr_queue_ptr 0
		.amdhsa_user_sgpr_kernarg_segment_ptr 1
		.amdhsa_user_sgpr_dispatch_id 0
		.amdhsa_user_sgpr_private_segment_size 0
		.amdhsa_wavefront_size32 1
		.amdhsa_uses_dynamic_stack 0
		.amdhsa_enable_private_segment 0
		.amdhsa_system_sgpr_workgroup_id_x 1
		.amdhsa_system_sgpr_workgroup_id_y 0
		.amdhsa_system_sgpr_workgroup_id_z 0
		.amdhsa_system_sgpr_workgroup_info 0
		.amdhsa_system_vgpr_workitem_id 0
		.amdhsa_next_free_vgpr 70
		.amdhsa_next_free_sgpr 49
		.amdhsa_reserve_vcc 1
		.amdhsa_float_round_mode_32 0
		.amdhsa_float_round_mode_16_64 0
		.amdhsa_float_denorm_mode_32 3
		.amdhsa_float_denorm_mode_16_64 3
		.amdhsa_fp16_overflow 0
		.amdhsa_workgroup_processor_mode 1
		.amdhsa_memory_ordered 1
		.amdhsa_forward_progress 0
		.amdhsa_round_robin_scheduling 0
		.amdhsa_exception_fp_ieee_invalid_op 0
		.amdhsa_exception_fp_denorm_src 0
		.amdhsa_exception_fp_ieee_div_zero 0
		.amdhsa_exception_fp_ieee_overflow 0
		.amdhsa_exception_fp_ieee_underflow 0
		.amdhsa_exception_fp_ieee_inexact 0
		.amdhsa_exception_int_div_zero 0
	.end_amdhsa_kernel
	.text
.Lfunc_end0:
	.size	fft_rtc_fwd_len336_factors_6_7_8_wgs_336_tpt_56_half_ip_CI_sbcc_twdbase5_3step_dirReg_intrinsicRead, .Lfunc_end0-fft_rtc_fwd_len336_factors_6_7_8_wgs_336_tpt_56_half_ip_CI_sbcc_twdbase5_3step_dirReg_intrinsicRead
                                        ; -- End function
	.section	.AMDGPU.csdata,"",@progbits
; Kernel info:
; codeLenInByte = 6988
; NumSgprs: 51
; NumVgprs: 70
; ScratchSize: 0
; MemoryBound: 0
; FloatMode: 240
; IeeeMode: 1
; LDSByteSize: 0 bytes/workgroup (compile time only)
; SGPRBlocks: 6
; VGPRBlocks: 8
; NumSGPRsForWavesPerEU: 51
; NumVGPRsForWavesPerEU: 70
; Occupancy: 14
; WaveLimiterHint : 1
; COMPUTE_PGM_RSRC2:SCRATCH_EN: 0
; COMPUTE_PGM_RSRC2:USER_SGPR: 2
; COMPUTE_PGM_RSRC2:TRAP_HANDLER: 0
; COMPUTE_PGM_RSRC2:TGID_X_EN: 1
; COMPUTE_PGM_RSRC2:TGID_Y_EN: 0
; COMPUTE_PGM_RSRC2:TGID_Z_EN: 0
; COMPUTE_PGM_RSRC2:TIDIG_COMP_CNT: 0
	.text
	.p2alignl 7, 3214868480
	.fill 96, 4, 3214868480
	.type	__hip_cuid_2937ec4c782b7264,@object ; @__hip_cuid_2937ec4c782b7264
	.section	.bss,"aw",@nobits
	.globl	__hip_cuid_2937ec4c782b7264
__hip_cuid_2937ec4c782b7264:
	.byte	0                               ; 0x0
	.size	__hip_cuid_2937ec4c782b7264, 1

	.ident	"AMD clang version 19.0.0git (https://github.com/RadeonOpenCompute/llvm-project roc-6.4.0 25133 c7fe45cf4b819c5991fe208aaa96edf142730f1d)"
	.section	".note.GNU-stack","",@progbits
	.addrsig
	.addrsig_sym __hip_cuid_2937ec4c782b7264
	.amdgpu_metadata
---
amdhsa.kernels:
  - .args:
      - .actual_access:  read_only
        .address_space:  global
        .offset:         0
        .size:           8
        .value_kind:     global_buffer
      - .address_space:  global
        .offset:         8
        .size:           8
        .value_kind:     global_buffer
      - .offset:         16
        .size:           8
        .value_kind:     by_value
      - .actual_access:  read_only
        .address_space:  global
        .offset:         24
        .size:           8
        .value_kind:     global_buffer
      - .actual_access:  read_only
        .address_space:  global
        .offset:         32
        .size:           8
        .value_kind:     global_buffer
      - .offset:         40
        .size:           8
        .value_kind:     by_value
      - .actual_access:  read_only
        .address_space:  global
        .offset:         48
        .size:           8
        .value_kind:     global_buffer
      - .actual_access:  read_only
        .address_space:  global
        .offset:         56
        .size:           8
        .value_kind:     global_buffer
      - .offset:         64
        .size:           4
        .value_kind:     by_value
      - .actual_access:  read_only
        .address_space:  global
        .offset:         72
        .size:           8
        .value_kind:     global_buffer
      - .actual_access:  read_only
        .address_space:  global
        .offset:         80
        .size:           8
        .value_kind:     global_buffer
      - .address_space:  global
        .offset:         88
        .size:           8
        .value_kind:     global_buffer
    .group_segment_fixed_size: 0
    .kernarg_segment_align: 8
    .kernarg_segment_size: 96
    .language:       OpenCL C
    .language_version:
      - 2
      - 0
    .max_flat_workgroup_size: 336
    .name:           fft_rtc_fwd_len336_factors_6_7_8_wgs_336_tpt_56_half_ip_CI_sbcc_twdbase5_3step_dirReg_intrinsicRead
    .private_segment_fixed_size: 0
    .sgpr_count:     51
    .sgpr_spill_count: 0
    .symbol:         fft_rtc_fwd_len336_factors_6_7_8_wgs_336_tpt_56_half_ip_CI_sbcc_twdbase5_3step_dirReg_intrinsicRead.kd
    .uniform_work_group_size: 1
    .uses_dynamic_stack: false
    .vgpr_count:     70
    .vgpr_spill_count: 0
    .wavefront_size: 32
    .workgroup_processor_mode: 1
amdhsa.target:   amdgcn-amd-amdhsa--gfx1201
amdhsa.version:
  - 1
  - 2
...

	.end_amdgpu_metadata
